;; amdgpu-corpus repo=ROCm/rocFFT kind=compiled arch=gfx950 opt=O3
	.text
	.amdgcn_target "amdgcn-amd-amdhsa--gfx950"
	.amdhsa_code_object_version 6
	.protected	fft_rtc_back_len240_factors_8_5_6_wgs_384_tpt_48_sp_ip_CI_sbcc_twdbase5_3step_dirReg_intrinsicReadWrite ; -- Begin function fft_rtc_back_len240_factors_8_5_6_wgs_384_tpt_48_sp_ip_CI_sbcc_twdbase5_3step_dirReg_intrinsicReadWrite
	.globl	fft_rtc_back_len240_factors_8_5_6_wgs_384_tpt_48_sp_ip_CI_sbcc_twdbase5_3step_dirReg_intrinsicReadWrite
	.p2align	8
	.type	fft_rtc_back_len240_factors_8_5_6_wgs_384_tpt_48_sp_ip_CI_sbcc_twdbase5_3step_dirReg_intrinsicReadWrite,@function
fft_rtc_back_len240_factors_8_5_6_wgs_384_tpt_48_sp_ip_CI_sbcc_twdbase5_3step_dirReg_intrinsicReadWrite: ; @fft_rtc_back_len240_factors_8_5_6_wgs_384_tpt_48_sp_ip_CI_sbcc_twdbase5_3step_dirReg_intrinsicReadWrite
; %bb.0:
	s_load_dwordx8 s[4:11], s[0:1], 0x8
	s_movk_i32 s3, 0x60
	v_cmp_gt_u32_e32 vcc, s3, v0
	s_and_saveexec_b64 s[12:13], vcc
	s_cbranch_execz .LBB0_2
; %bb.1:
	v_lshlrev_b32_e32 v1, 3, v0
	s_waitcnt lgkmcnt(0)
	global_load_dwordx2 v[2:3], v1, s[4:5]
	v_add_u32_e32 v1, 0, v1
	s_waitcnt vmcnt(0)
	ds_write_b64 v1, v[2:3] offset:15360
.LBB0_2:
	s_or_b64 exec, exec, s[12:13]
	s_waitcnt lgkmcnt(0)
	s_load_dwordx2 s[18:19], s[8:9], 0x8
	s_mov_b32 s3, 0
	s_mov_b64 s[24:25], 0
	s_waitcnt lgkmcnt(0)
	s_add_u32 s4, s18, -1
	s_addc_u32 s5, s19, -1
	s_lshr_b64 s[4:5], s[4:5], 3
	s_add_u32 s20, s4, 1
	s_addc_u32 s21, s5, 0
	v_mov_b64_e32 v[2:3], s[20:21]
	v_cmp_lt_u64_e32 vcc, s[2:3], v[2:3]
	s_cbranch_vccnz .LBB0_4
; %bb.3:
	v_cvt_f32_u32_e32 v1, s20
	s_sub_i32 s4, 0, s20
	s_mov_b32 s25, s3
	v_rcp_iflag_f32_e32 v1, v1
	s_nop 0
	v_mul_f32_e32 v1, 0x4f7ffffe, v1
	v_cvt_u32_f32_e32 v1, v1
	s_nop 0
	v_readfirstlane_b32 s5, v1
	s_mul_i32 s4, s4, s5
	s_mul_hi_u32 s4, s5, s4
	s_add_i32 s5, s5, s4
	s_mul_hi_u32 s4, s2, s5
	s_mul_i32 s12, s4, s20
	s_sub_i32 s12, s2, s12
	s_add_i32 s5, s4, 1
	s_sub_i32 s13, s12, s20
	s_cmp_ge_u32 s12, s20
	s_cselect_b32 s4, s5, s4
	s_cselect_b32 s12, s13, s12
	s_add_i32 s5, s4, 1
	s_cmp_ge_u32 s12, s20
	s_cselect_b32 s24, s5, s4
.LBB0_4:
	s_load_dwordx2 s[4:5], s[0:1], 0x58
	s_load_dwordx2 s[16:17], s[0:1], 0x0
	s_load_dwordx4 s[12:15], s[10:11], 0x0
	s_mul_i32 s0, s24, s21
	s_mul_hi_u32 s1, s24, s20
	s_add_i32 s1, s1, s0
	s_mul_i32 s0, s24, s20
	s_sub_u32 s0, s2, s0
	s_subb_u32 s1, 0, s1
	v_mov_b32_e32 v1, s0
	s_lshl_b64 s[22:23], s[0:1], 3
	v_alignbit_b32 v1, s1, v1, 29
	s_waitcnt lgkmcnt(0)
	v_mul_lo_u32 v1, s14, v1
	s_mul_hi_u32 s0, s14, s22
	v_add_u32_e32 v1, s0, v1
	s_mul_i32 s0, s15, s22
	v_add_u32_e32 v3, s0, v1
	s_mul_i32 s0, s14, s22
	v_mov_b32_e32 v2, s0
	v_cmp_lt_u64_e64 s[0:1], s[6:7], 3
	s_and_b64 vcc, exec, s[0:1]
	s_cbranch_vccnz .LBB0_13
; %bb.5:
	s_add_u32 s26, s10, 16
	s_addc_u32 s27, s11, 0
	s_add_u32 s8, s8, 16
	s_addc_u32 s9, s9, 0
	s_mov_b64 s[28:29], 2
	s_mov_b32 s30, 0
	v_mov_b64_e32 v[4:5], s[6:7]
	s_branch .LBB0_7
.LBB0_6:                                ;   in Loop: Header=BB0_7 Depth=1
	s_mul_i32 s13, s34, s21
	s_mul_hi_u32 s15, s34, s20
	s_add_i32 s13, s15, s13
	s_mul_i32 s15, s35, s20
	s_add_i32 s21, s13, s15
	s_mul_i32 s13, s0, s35
	s_mul_hi_u32 s15, s0, s34
	s_load_dwordx2 s[36:37], s[26:27], 0x0
	s_add_i32 s13, s15, s13
	s_mul_i32 s15, s1, s34
	s_add_i32 s13, s13, s15
	s_mul_i32 s15, s0, s34
	s_sub_u32 s15, s24, s15
	s_subb_u32 s13, s25, s13
	s_waitcnt lgkmcnt(0)
	s_mul_i32 s13, s36, s13
	s_mul_hi_u32 s24, s36, s15
	s_add_i32 s13, s24, s13
	s_mul_i32 s24, s37, s15
	s_add_i32 s25, s13, s24
	s_add_u32 s28, s28, 1
	s_addc_u32 s29, s29, 0
	s_add_u32 s26, s26, 8
	s_addc_u32 s27, s27, 0
	s_mul_i32 s24, s36, s15
	s_add_u32 s8, s8, 8
	v_cmp_ge_u64_e32 vcc, s[28:29], v[4:5]
	s_mul_i32 s20, s34, s20
	v_lshl_add_u64 v[2:3], s[24:25], 0, v[2:3]
	s_addc_u32 s9, s9, 0
	s_mov_b64 s[24:25], s[0:1]
	s_cbranch_vccnz .LBB0_11
.LBB0_7:                                ; =>This Inner Loop Header: Depth=1
	s_load_dwordx2 s[34:35], s[8:9], 0x0
	s_waitcnt lgkmcnt(0)
	s_or_b64 s[0:1], s[24:25], s[34:35]
	s_mov_b32 s31, s1
	s_cmp_lg_u64 s[30:31], 0
	s_cbranch_scc0 .LBB0_9
; %bb.8:                                ;   in Loop: Header=BB0_7 Depth=1
	v_cvt_f32_u32_e32 v1, s34
	v_cvt_f32_u32_e32 v6, s35
	s_sub_u32 s0, 0, s34
	s_subb_u32 s1, 0, s35
	v_fmac_f32_e32 v1, 0x4f800000, v6
	v_rcp_f32_e32 v1, v1
	s_nop 0
	v_mul_f32_e32 v1, 0x5f7ffffc, v1
	v_mul_f32_e32 v6, 0x2f800000, v1
	v_trunc_f32_e32 v6, v6
	v_fmac_f32_e32 v1, 0xcf800000, v6
	v_cvt_u32_f32_e32 v6, v6
	v_cvt_u32_f32_e32 v1, v1
	v_readfirstlane_b32 s13, v6
	v_readfirstlane_b32 s15, v1
	s_mul_i32 s31, s0, s13
	s_mul_hi_u32 s36, s0, s15
	s_mul_i32 s33, s1, s15
	s_add_i32 s31, s36, s31
	s_mul_i32 s37, s0, s15
	s_add_i32 s31, s31, s33
	s_mul_hi_u32 s33, s15, s31
	s_mul_i32 s36, s15, s31
	s_mul_hi_u32 s15, s15, s37
	s_add_u32 s15, s15, s36
	s_addc_u32 s33, 0, s33
	s_mul_hi_u32 s38, s13, s37
	s_mul_i32 s37, s13, s37
	s_add_u32 s15, s15, s37
	s_mul_hi_u32 s36, s13, s31
	s_addc_u32 s15, s33, s38
	s_addc_u32 s33, s36, 0
	s_mul_i32 s31, s13, s31
	s_add_u32 s15, s15, s31
	s_addc_u32 s31, 0, s33
	v_add_co_u32_e32 v1, vcc, s15, v1
	s_cmp_lg_u64 vcc, 0
	s_addc_u32 s13, s13, s31
	v_readfirstlane_b32 s31, v1
	s_mul_i32 s15, s0, s13
	s_mul_hi_u32 s33, s0, s31
	s_add_i32 s15, s33, s15
	s_mul_i32 s1, s1, s31
	s_add_i32 s15, s15, s1
	s_mul_i32 s0, s0, s31
	s_mul_hi_u32 s33, s13, s0
	s_mul_i32 s36, s13, s0
	s_mul_i32 s38, s31, s15
	s_mul_hi_u32 s0, s31, s0
	s_mul_hi_u32 s37, s31, s15
	s_add_u32 s0, s0, s38
	s_addc_u32 s31, 0, s37
	s_add_u32 s0, s0, s36
	s_mul_hi_u32 s1, s13, s15
	s_addc_u32 s0, s31, s33
	s_addc_u32 s1, s1, 0
	s_mul_i32 s15, s13, s15
	s_add_u32 s0, s0, s15
	s_addc_u32 s1, 0, s1
	v_add_co_u32_e32 v1, vcc, s0, v1
	s_cmp_lg_u64 vcc, 0
	s_addc_u32 s0, s13, s1
	v_readfirstlane_b32 s15, v1
	s_mul_i32 s13, s24, s0
	s_mul_hi_u32 s31, s24, s15
	s_mul_hi_u32 s1, s24, s0
	s_add_u32 s13, s31, s13
	s_addc_u32 s1, 0, s1
	s_mul_hi_u32 s33, s25, s15
	s_mul_i32 s15, s25, s15
	s_add_u32 s13, s13, s15
	s_mul_hi_u32 s31, s25, s0
	s_addc_u32 s1, s1, s33
	s_addc_u32 s13, s31, 0
	s_mul_i32 s0, s25, s0
	s_add_u32 s15, s1, s0
	s_addc_u32 s13, 0, s13
	s_mul_i32 s0, s34, s13
	s_mul_hi_u32 s1, s34, s15
	s_add_i32 s0, s1, s0
	s_mul_i32 s1, s35, s15
	s_add_i32 s31, s0, s1
	s_mul_i32 s1, s34, s15
	v_mov_b32_e32 v1, s1
	s_sub_i32 s0, s25, s31
	v_sub_co_u32_e32 v1, vcc, s24, v1
	s_cmp_lg_u64 vcc, 0
	s_subb_u32 s33, s0, s35
	v_subrev_co_u32_e64 v6, s[0:1], s34, v1
	s_cmp_lg_u64 s[0:1], 0
	s_subb_u32 s0, s33, 0
	s_cmp_ge_u32 s0, s35
	v_readfirstlane_b32 s33, v6
	s_cselect_b32 s1, -1, 0
	s_cmp_ge_u32 s33, s34
	s_cselect_b32 s33, -1, 0
	s_cmp_eq_u32 s0, s35
	s_cselect_b32 s0, s33, s1
	s_add_u32 s1, s15, 1
	s_addc_u32 s33, s13, 0
	s_add_u32 s36, s15, 2
	s_addc_u32 s37, s13, 0
	s_cmp_lg_u32 s0, 0
	s_cselect_b32 s0, s36, s1
	s_cselect_b32 s1, s37, s33
	s_cmp_lg_u64 vcc, 0
	s_subb_u32 s31, s25, s31
	s_cmp_ge_u32 s31, s35
	v_readfirstlane_b32 s36, v1
	s_cselect_b32 s33, -1, 0
	s_cmp_ge_u32 s36, s34
	s_cselect_b32 s36, -1, 0
	s_cmp_eq_u32 s31, s35
	s_cselect_b32 s31, s36, s33
	s_cmp_lg_u32 s31, 0
	s_cselect_b32 s1, s1, s13
	s_cselect_b32 s0, s0, s15
	s_cbranch_execnz .LBB0_6
	s_branch .LBB0_10
.LBB0_9:                                ;   in Loop: Header=BB0_7 Depth=1
                                        ; implicit-def: $sgpr0_sgpr1
.LBB0_10:                               ;   in Loop: Header=BB0_7 Depth=1
	v_cvt_f32_u32_e32 v1, s34
	s_sub_i32 s0, 0, s34
	v_rcp_iflag_f32_e32 v1, v1
	s_nop 0
	v_mul_f32_e32 v1, 0x4f7ffffe, v1
	v_cvt_u32_f32_e32 v1, v1
	s_nop 0
	v_readfirstlane_b32 s1, v1
	s_mul_i32 s0, s0, s1
	s_mul_hi_u32 s0, s1, s0
	s_add_i32 s1, s1, s0
	s_mul_hi_u32 s0, s24, s1
	s_mul_i32 s13, s0, s34
	s_sub_i32 s13, s24, s13
	s_add_i32 s1, s0, 1
	s_sub_i32 s15, s13, s34
	s_cmp_ge_u32 s13, s34
	s_cselect_b32 s0, s1, s0
	s_cselect_b32 s13, s15, s13
	s_add_i32 s1, s0, 1
	s_cmp_ge_u32 s13, s34
	s_cselect_b32 s0, s1, s0
	s_mov_b32 s1, s30
	s_branch .LBB0_6
.LBB0_11:
	v_mov_b64_e32 v[4:5], s[20:21]
	v_cmp_lt_u64_e32 vcc, s[2:3], v[4:5]
	s_mov_b64 s[24:25], 0
	s_cbranch_vccnz .LBB0_13
; %bb.12:
	v_cvt_f32_u32_e32 v1, s20
	s_sub_i32 s0, 0, s20
	v_rcp_iflag_f32_e32 v1, v1
	s_nop 0
	v_mul_f32_e32 v1, 0x4f7ffffe, v1
	v_cvt_u32_f32_e32 v1, v1
	s_nop 0
	v_readfirstlane_b32 s1, v1
	s_mul_i32 s0, s0, s1
	s_mul_hi_u32 s0, s1, s0
	s_add_i32 s1, s1, s0
	s_mul_hi_u32 s0, s2, s1
	s_mul_i32 s3, s0, s20
	s_sub_i32 s2, s2, s3
	s_add_i32 s1, s0, 1
	s_sub_i32 s3, s2, s20
	s_cmp_ge_u32 s2, s20
	s_cselect_b32 s0, s1, s0
	s_cselect_b32 s2, s3, s2
	s_add_i32 s1, s0, 1
	s_cmp_ge_u32 s2, s20
	s_cselect_b32 s24, s1, s0
.LBB0_13:
	s_lshl_b64 s[0:1], s[6:7], 3
	s_add_u32 s0, s10, s0
	s_addc_u32 s1, s11, s1
	s_load_dwordx2 s[0:1], s[0:1], 0x0
	v_and_b32_e32 v36, 7, v0
	v_or_b32_e32 v18, s22, v36
	v_mov_b32_e32 v19, s23
	v_lshrrev_b32_e32 v1, 3, v0
	s_waitcnt lgkmcnt(0)
	s_mul_i32 s1, s1, s24
	s_mul_hi_u32 s2, s0, s24
	s_mul_i32 s0, s0, s24
	s_add_i32 s1, s2, s1
	v_lshl_add_u64 v[14:15], s[0:1], 0, v[2:3]
	s_add_u32 s0, s22, 8
	s_addc_u32 s1, s23, 0
	v_mov_b64_e32 v[2:3], s[18:19]
	v_cmp_le_u64_e32 vcc, s[0:1], v[2:3]
	v_mad_u64_u32 v[16:17], s[0:1], s14, v36, 0
	s_movk_i32 s2, 0xf0
	s_movk_i32 s0, 0xef
	v_cmp_gt_u32_e64 s[2:3], s2, v0
	v_cmp_lt_u32_e64 s[0:1], s0, v0
	s_or_b64 s[0:1], s[0:1], vcc
	v_cndmask_b32_e64 v2, 0, 1, s[2:3]
	v_cmp_gt_u64_e64 s[2:3], s[18:19], v[18:19]
	v_mov_b32_e32 v6, 0
	v_mov_b32_e32 v7, 0
	v_cndmask_b32_e64 v15, 0, 1, s[2:3]
	v_cndmask_b32_e64 v2, v15, v2, s[0:1]
	v_and_b32_e32 v2, 1, v2
	v_cmp_eq_u32_e64 s[0:1], 1, v2
	v_mov_b32_e32 v2, 0
	s_and_saveexec_b64 s[2:3], s[0:1]
	s_cbranch_execz .LBB0_15
; %bb.14:
	v_mul_lo_u32 v3, s12, v1
	v_add3_u32 v4, v14, v16, v3
	v_mov_b32_e32 v5, 0
	v_lshl_add_u64 v[4:5], v[4:5], 3, s[4:5]
	global_load_dwordx2 v[6:7], v[4:5], off
.LBB0_15:
	s_or_b64 exec, exec, s[2:3]
	v_mov_b32_e32 v3, 0
	s_and_saveexec_b64 s[2:3], s[0:1]
	s_cbranch_execz .LBB0_17
; %bb.16:
	v_add_u32_e32 v2, 30, v1
	v_mul_lo_u32 v2, s12, v2
	v_add3_u32 v2, v14, v16, v2
	v_mov_b32_e32 v3, 0
	v_lshl_add_u64 v[2:3], v[2:3], 3, s[4:5]
	global_load_dwordx2 v[2:3], v[2:3], off
.LBB0_17:
	s_or_b64 exec, exec, s[2:3]
	v_mov_b32_e32 v8, 0
	v_mov_b32_e32 v10, 0
	v_mov_b32_e32 v11, 0
	s_and_saveexec_b64 s[2:3], s[0:1]
	s_cbranch_execz .LBB0_19
; %bb.18:
	v_add_u32_e32 v4, 60, v1
	v_mul_lo_u32 v4, s12, v4
	v_add3_u32 v4, v14, v16, v4
	v_mov_b32_e32 v5, 0
	v_lshl_add_u64 v[4:5], v[4:5], 3, s[4:5]
	global_load_dwordx2 v[10:11], v[4:5], off
.LBB0_19:
	s_or_b64 exec, exec, s[2:3]
	v_mov_b32_e32 v9, 0
	s_and_saveexec_b64 s[2:3], s[0:1]
	s_cbranch_execz .LBB0_21
; %bb.20:
	v_add_u32_e32 v4, 0x5a, v1
	v_mul_lo_u32 v4, s12, v4
	v_add3_u32 v4, v14, v16, v4
	v_mov_b32_e32 v5, 0
	v_lshl_add_u64 v[4:5], v[4:5], 3, s[4:5]
	global_load_dwordx2 v[8:9], v[4:5], off
.LBB0_21:
	s_or_b64 exec, exec, s[2:3]
	v_mov_b32_e32 v4, 0
	v_mov_b32_e32 v12, 0
	v_mov_b32_e32 v13, 0
	s_and_saveexec_b64 s[2:3], s[0:1]
	s_cbranch_execz .LBB0_23
; %bb.22:
	v_add_u32_e32 v5, 0x78, v1
	v_mul_lo_u32 v5, s12, v5
	v_add3_u32 v12, v14, v16, v5
	v_mov_b32_e32 v13, 0
	v_lshl_add_u64 v[12:13], v[12:13], 3, s[4:5]
	global_load_dwordx2 v[12:13], v[12:13], off
.LBB0_23:
	;; [unrolled: 26-line block ×3, first 2 shown]
	s_or_b64 exec, exec, s[2:3]
	v_mov_b32_e32 v21, 0
	s_and_saveexec_b64 s[2:3], s[0:1]
	s_cbranch_execz .LBB0_29
; %bb.28:
	v_add_u32_e32 v17, 0xd2, v1
	v_mul_lo_u32 v17, s12, v17
	v_add3_u32 v20, v14, v16, v17
	v_mov_b32_e32 v21, 0
	v_lshl_add_u64 v[20:21], v[20:21], 3, s[4:5]
	global_load_dwordx2 v[20:21], v[20:21], off
.LBB0_29:
	s_or_b64 exec, exec, s[2:3]
	s_waitcnt vmcnt(0)
	v_pk_add_f32 v[24:25], v[6:7], v[12:13] neg_lo:[0,1] neg_hi:[0,1]
	v_pk_add_f32 v[26:27], v[10:11], v[22:23] neg_lo:[0,1] neg_hi:[0,1]
	;; [unrolled: 1-line block ×4, first 2 shown]
	v_pk_add_f32 v[12:13], v[24:25], v[26:27] op_sel:[0,1] op_sel_hi:[1,0]
	v_pk_add_f32 v[4:5], v[24:25], v[26:27] op_sel:[0,1] op_sel_hi:[1,0] neg_lo:[0,1] neg_hi:[0,1]
	v_pk_add_f32 v[22:23], v[28:29], v[30:31] op_sel:[0,1] op_sel_hi:[1,0]
	v_mov_b32_e32 v13, v5
	v_pk_add_f32 v[4:5], v[28:29], v[30:31] op_sel:[0,1] op_sel_hi:[1,0] neg_lo:[0,1] neg_hi:[0,1]
	v_pk_fma_f32 v[32:33], v[24:25], 2.0, v[12:13] op_sel_hi:[1,0,1] neg_lo:[0,0,1] neg_hi:[0,0,1]
	v_mov_b32_e32 v23, v5
	v_pk_fma_f32 v[20:21], v[28:29], 2.0, v[22:23] op_sel_hi:[1,0,1] neg_lo:[0,0,1] neg_hi:[0,0,1]
	s_mov_b32 s0, 0x3f3504f3
	v_pk_mul_f32 v[4:5], v[20:21], s[0:1] op_sel_hi:[1,0]
	v_pk_fma_f32 v[34:35], v[20:21], s[0:1], v[32:33] op_sel_hi:[1,0,1] neg_lo:[1,0,0] neg_hi:[1,0,0]
	s_movk_i32 s0, 0xef
	v_cmp_lt_u32_e64 s[0:1], s0, v0
	v_lshlrev_b32_e32 v17, 6, v1
	s_and_saveexec_b64 s[2:3], s[0:1]
	s_xor_b64 s[0:1], exec, s[2:3]
; %bb.30:
	v_lshlrev_b32_e32 v17, 6, v1
                                        ; implicit-def: $vgpr24_vgpr25
                                        ; implicit-def: $vgpr26_vgpr27
                                        ; implicit-def: $vgpr28_vgpr29
                                        ; implicit-def: $vgpr30_vgpr31
                                        ; implicit-def: $vgpr32_vgpr33
                                        ; implicit-def: $vgpr22_vgpr23
                                        ; implicit-def: $vgpr12_vgpr13
                                        ; implicit-def: $vgpr6_vgpr7
                                        ; implicit-def: $vgpr2_vgpr3
                                        ; implicit-def: $vgpr10_vgpr11
                                        ; implicit-def: $vgpr8_vgpr9
; %bb.31:
	s_or_saveexec_b64 s[0:1], s[0:1]
	v_pk_add_f32 v[20:21], v[34:35], v[4:5] op_sel:[0,1] op_sel_hi:[1,0]
	v_pk_add_f32 v[4:5], v[34:35], v[4:5] op_sel:[0,1] op_sel_hi:[1,0] neg_lo:[0,1] neg_hi:[0,1]
	s_nop 0
	v_lshlrev_b32_e32 v4, 3, v36
	s_xor_b64 exec, exec, s[0:1]
	s_cbranch_execz .LBB0_33
; %bb.32:
	v_pk_fma_f32 v[6:7], v[6:7], 2.0, v[24:25] op_sel_hi:[1,0,1] neg_lo:[0,0,1] neg_hi:[0,0,1]
	v_pk_fma_f32 v[10:11], v[10:11], 2.0, v[26:27] op_sel_hi:[1,0,1] neg_lo:[0,0,1] neg_hi:[0,0,1]
	;; [unrolled: 1-line block ×4, first 2 shown]
	v_pk_add_f32 v[10:11], v[6:7], v[10:11] neg_lo:[0,1] neg_hi:[0,1]
	v_pk_add_f32 v[8:9], v[2:3], v[8:9] neg_lo:[0,1] neg_hi:[0,1]
	v_pk_fma_f32 v[6:7], v[6:7], 2.0, v[10:11] op_sel_hi:[1,0,1] neg_lo:[0,0,1] neg_hi:[0,0,1]
	v_pk_fma_f32 v[2:3], v[2:3], 2.0, v[8:9] op_sel_hi:[1,0,1] neg_lo:[0,0,1] neg_hi:[0,0,1]
	v_mov_b32_e32 v21, v5
	v_lshlrev_b32_e32 v19, 9, v1
	v_pk_add_f32 v[2:3], v[6:7], v[2:3] neg_lo:[0,1] neg_hi:[0,1]
	v_add3_u32 v19, 0, v19, v4
	v_pk_fma_f32 v[6:7], v[6:7], 2.0, v[2:3] op_sel_hi:[1,0,1] neg_lo:[0,0,1] neg_hi:[0,0,1]
	v_pk_fma_f32 v[24:25], v[32:33], 2.0, v[20:21] op_sel_hi:[1,0,1] neg_lo:[0,0,1] neg_hi:[0,0,1]
	ds_write2_b64 v19, v[6:7], v[24:25] offset1:8
	v_pk_add_f32 v[6:7], v[10:11], v[8:9] op_sel:[0,1] op_sel_hi:[1,0]
	v_pk_add_f32 v[8:9], v[10:11], v[8:9] op_sel:[0,1] op_sel_hi:[1,0] neg_lo:[0,1] neg_hi:[0,1]
	s_mov_b32 s2, 0x3f3504f3
	v_mov_b32_e32 v7, v9
	v_pk_fma_f32 v[8:9], v[10:11], 2.0, v[6:7] op_sel_hi:[1,0,1] neg_lo:[0,0,1] neg_hi:[0,0,1]
	v_pk_mul_f32 v[10:11], v[22:23], s[2:3] op_sel_hi:[1,0]
	v_pk_fma_f32 v[22:23], v[22:23], s[2:3], v[12:13] op_sel_hi:[1,0,1]
	s_nop 0
	v_pk_add_f32 v[24:25], v[22:23], v[10:11] op_sel:[0,1] op_sel_hi:[1,0]
	v_pk_add_f32 v[10:11], v[22:23], v[10:11] op_sel:[0,1] op_sel_hi:[1,0] neg_lo:[0,1] neg_hi:[0,1]
	s_nop 0
	v_mov_b32_e32 v25, v11
	v_pk_fma_f32 v[10:11], v[12:13], 2.0, v[24:25] op_sel_hi:[1,0,1] neg_lo:[0,0,1] neg_hi:[0,0,1]
	ds_write2_b64 v19, v[8:9], v[10:11] offset0:16 offset1:24
	ds_write2_b64 v19, v[2:3], v[20:21] offset0:32 offset1:40
	;; [unrolled: 1-line block ×3, first 2 shown]
.LBB0_33:
	s_or_b64 exec, exec, s[0:1]
	v_bfe_u32 v19, v0, 3, 3
	v_lshlrev_b32_e32 v2, 5, v19
	s_waitcnt lgkmcnt(0)
	s_barrier
	global_load_dwordx4 v[6:9], v2, s[16:17]
	global_load_dwordx4 v[10:13], v2, s[16:17] offset:16
	v_add3_u32 v17, 0, v17, v4
	ds_read2_b32 v[2:3], v17 offset1:1
	ds_read2st64_b64 v[22:25], v17 offset0:6 offset1:12
	ds_read2st64_b64 v[26:29], v17 offset0:18 offset1:24
	v_lshrrev_b32_e32 v21, 6, v0
	v_mul_u32_u24_e32 v21, 40, v21
	v_or_b32_e32 v19, v21, v19
	v_lshlrev_b32_e32 v19, 6, v19
	v_add3_u32 v19, 0, v19, v4
	s_waitcnt lgkmcnt(1)
	v_mov_b32_e32 v4, v25
	s_mov_b32 s0, 0x3f167918
	s_mov_b32 s1, 0x3f737871
	;; [unrolled: 1-line block ×5, first 2 shown]
	s_waitcnt lgkmcnt(0)
	s_barrier
	s_waitcnt vmcnt(1)
	v_mov_b32_e32 v30, v9
	v_mov_b32_e32 v31, v8
	v_pk_mul_f32 v[8:9], v[8:9], v[24:25] op_sel_hi:[1,0]
	s_waitcnt vmcnt(0)
	v_pk_mul_f32 v[32:33], v[10:11], v[26:27] op_sel:[0,1]
	v_pk_mul_f32 v[34:35], v[12:13], v[28:29] op_sel:[0,1]
	;; [unrolled: 1-line block ×3, first 2 shown]
	v_pk_fma_f32 v[38:39], v[30:31], v[4:5], v[8:9]
	v_pk_fma_f32 v[8:9], v[30:31], v[24:25], v[8:9] op_sel:[0,1,0] neg_lo:[0,0,1] neg_hi:[0,0,1]
	v_pk_fma_f32 v[24:25], v[10:11], v[26:27], v[32:33] op_sel:[0,0,1] op_sel_hi:[1,1,0]
	v_pk_fma_f32 v[10:11], v[10:11], v[26:27], v[32:33] op_sel:[0,0,1] op_sel_hi:[1,0,0] neg_lo:[1,0,0] neg_hi:[1,0,0]
	v_pk_fma_f32 v[26:27], v[12:13], v[28:29], v[34:35] op_sel:[0,0,1] op_sel_hi:[1,1,0]
	v_pk_fma_f32 v[12:13], v[12:13], v[28:29], v[34:35] op_sel:[0,0,1] op_sel_hi:[1,0,0] neg_lo:[1,0,0] neg_hi:[1,0,0]
	;; [unrolled: 2-line block ×3, first 2 shown]
	v_mov_b32_e32 v39, v9
	v_mov_b32_e32 v25, v11
	;; [unrolled: 1-line block ×10, first 2 shown]
	v_pk_add_f32 v[22:23], v[6:7], v[12:13] neg_lo:[0,1] neg_hi:[0,1]
	v_pk_add_f32 v[6:7], v[38:39], v[24:25]
	v_pk_add_f32 v[12:13], v[28:29], v[38:39] neg_lo:[0,1] neg_hi:[0,1]
	v_pk_add_f32 v[30:31], v[26:27], v[24:25] neg_lo:[0,1] neg_hi:[0,1]
	v_pk_add_f32 v[32:33], v[28:29], v[2:3]
	v_pk_add_f32 v[8:9], v[8:9], v[10:11] neg_lo:[0,1] neg_hi:[0,1]
	;; [unrolled: 3-line block ×3, first 2 shown]
	v_pk_mul_f32 v[36:37], v[22:23], s[0:1]
	v_pk_fma_f32 v[40:41], v[6:7], 0.5, v[2:3] op_sel_hi:[1,0,1] neg_lo:[1,0,0] neg_hi:[1,0,0]
	v_pk_add_f32 v[30:31], v[12:13], v[30:31]
	v_pk_mul_f32 v[12:13], v[22:23], s[6:7]
	v_pk_add_f32 v[6:7], v[32:33], v[38:39]
	v_pk_mul_f32 v[32:33], v[8:9], s[0:1]
	v_pk_mul_f32 v[38:39], v[8:9], s[6:7]
	v_pk_fma_f32 v[2:3], v[28:29], 0.5, v[2:3] op_sel_hi:[1,0,1] neg_lo:[1,0,0] neg_hi:[1,0,0]
	v_pk_add_f32 v[34:35], v[34:35], v[10:11]
	v_pk_add_f32 v[6:7], v[6:7], v[24:25]
	v_mov_b32_e32 v10, v37
	v_mov_b32_e32 v11, v33
	v_pk_fma_f32 v[24:25], v[22:23], s[6:7], v[2:3]
	v_mov_b32_e32 v4, v13
	v_mov_b32_e32 v28, v3
	;; [unrolled: 1-line block ×4, first 2 shown]
	v_pk_fma_f32 v[32:33], v[22:23], s[6:7], v[2:3] neg_lo:[1,0,0] neg_hi:[1,0,0]
	v_pk_add_f32 v[6:7], v[6:7], v[26:27]
	v_pk_add_f32 v[26:27], v[40:41], v[10:11] neg_lo:[0,1] neg_hi:[0,1]
	v_pk_add_f32 v[38:39], v[40:41], v[10:11]
	v_pk_add_f32 v[10:11], v[24:25], v[4:5] neg_lo:[0,1] neg_hi:[0,1]
	v_pk_fma_f32 v[24:25], v[8:9], s[6:7], v[28:29] neg_lo:[1,0,0] neg_hi:[1,0,0]
	v_pk_add_f32 v[2:3], v[2:3], v[12:13]
	v_pk_add_f32 v[12:13], v[32:33], v[4:5]
	v_mov_b32_e32 v11, v24
	v_pk_fma_f32 v[2:3], v[8:9], s[6:7], v[2:3] neg_lo:[1,0,0] neg_hi:[1,0,0]
	v_pk_fma_f32 v[28:29], v[22:23], s[0:1], v[26:27] neg_lo:[1,0,0] neg_hi:[1,0,0]
	v_pk_add_f32 v[32:33], v[38:39], v[36:37]
	v_pk_fma_f32 v[24:25], v[8:9], s[6:7], v[10:11]
	v_mov_b32_e32 v13, v3
	v_pk_fma_f32 v[2:3], v[22:23], s[0:1], v[38:39]
	v_pk_add_f32 v[22:23], v[26:27], v[36:37] neg_lo:[0,1] neg_hi:[0,1]
	v_mov_b32_e32 v29, v33
	v_mov_b32_e32 v11, v25
	;; [unrolled: 1-line block ×3, first 2 shown]
	s_movk_i32 s6, 0x140
	v_pk_fma_f32 v[8:9], v[30:31], s[2:3], v[28:29] op_sel_hi:[1,0,1]
	v_pk_fma_f32 v[10:11], v[34:35], s[2:3], v[10:11] op_sel_hi:[1,0,1]
	;; [unrolled: 1-line block ×4, first 2 shown]
	v_cmp_gt_u32_e64 s[0:1], s6, v0
	ds_write2st64_b64 v19, v[6:7], v[8:9] offset1:1
	ds_write2st64_b64 v19, v[10:11], v[12:13] offset0:2 offset1:3
	ds_write_b64 v19, v[2:3] offset:2048
	s_waitcnt lgkmcnt(0)
	s_barrier
	s_and_saveexec_b64 s[2:3], s[0:1]
	s_cbranch_execz .LBB0_35
; %bb.34:
	ds_read2st64_b64 v[6:9], v17 offset1:5
	ds_read2st64_b64 v[2:5], v17 offset0:20 offset1:25
	ds_read2st64_b64 v[10:13], v17 offset0:10 offset1:15
	s_waitcnt lgkmcnt(1)
	v_mov_b32_e32 v20, v4
.LBB0_35:
	s_or_b64 exec, exec, s[2:3]
	s_movk_i32 s0, 0x13f
	v_cmp_lt_u32_e64 s[0:1], s0, v0
	v_cmp_gt_u32_e64 s[2:3], s6, v0
	s_or_b64 vcc, s[0:1], vcc
	s_nop 0
	v_cndmask_b32_e64 v4, 0, 1, s[2:3]
	v_cndmask_b32_e32 v4, v15, v4, vcc
	v_and_b32_e32 v4, 1, v4
	v_cmp_eq_u32_e32 vcc, 1, v4
	s_and_saveexec_b64 s[0:1], vcc
	s_cbranch_execz .LBB0_37
; %bb.36:
	s_mov_b32 s0, 0x6666667
	v_mul_hi_u32 v4, v1, s0
	v_mul_u32_u24_e32 v4, 40, v4
	v_mul_hi_u32_u24_e32 v0, 0xcccccd, v0
	v_sub_u32_e32 v4, v1, v4
	s_movk_i32 s0, 0xf0
	v_mad_u32_u24 v15, v0, s0, v4
	v_mul_u32_u24_e32 v0, 5, v4
	v_lshlrev_b32_e32 v17, 3, v0
	v_add_u32_e32 v0, 0xc8, v4
	v_mul_lo_u32 v0, v0, v18
	v_lshrrev_b32_e32 v1, 7, v0
	s_add_i32 s0, 0, 0x3c00
	v_and_b32_e32 v1, 0xf8, v1
	v_lshrrev_b32_e32 v21, 2, v0
	s_movk_i32 s1, 0xffd8
	v_add_u32_e32 v1, s0, v1
	v_and_b32_e32 v19, 31, v0
	v_and_b32_e32 v21, 0xf8, v21
	v_mul_lo_u32 v36, v18, s1
	v_lshl_add_u32 v19, v19, 3, 0
	v_add_u32_e32 v21, s0, v21
	v_add_u32_e32 v28, v0, v36
	ds_read_b64 v[22:23], v1 offset:512
	ds_read_b64 v[0:1], v19 offset:15360
	;; [unrolled: 1-line block ×3, first 2 shown]
	v_lshrrev_b32_e32 v19, 7, v28
	v_and_b32_e32 v19, 0xf8, v19
	v_add_u32_e32 v19, s0, v19
	ds_read_b64 v[26:27], v19 offset:512
	s_waitcnt lgkmcnt(1)
	v_mul_f32_e32 v19, v0, v24
	v_fma_f32 v21, -v1, v25, v19
	v_pk_mul_f32 v[0:1], v[0:1], v[24:25] op_sel:[1,0] op_sel_hi:[0,1]
	v_and_b32_e32 v19, 31, v28
	v_lshrrev_b32_e32 v24, 2, v28
	v_mul_lo_u32 v44, v4, v18
	v_lshl_add_u32 v19, v19, 3, 0
	v_and_b32_e32 v24, 0xf8, v24
	v_and_b32_e32 v4, 31, v44
	v_add_u32_e32 v24, s0, v24
	v_lshl_add_u32 v25, v4, 3, 0
	ds_read_b32 v29, v19 offset:15360
	ds_read_b64 v[18:19], v24 offset:256
	ds_read_b64 v[32:33], v25 offset:15360
	v_add_f32_e32 v1, v0, v1
	v_mul_f32_e32 v0, v1, v23
	v_fma_f32 v0, v22, v21, -v0
	v_mul_f32_e32 v4, v21, v23
	s_waitcnt lgkmcnt(0)
	v_mul_f32_e32 v21, v33, v19
	v_mul_f32_e32 v19, v29, v19
	v_fmac_f32_e32 v19, v33, v18
	v_fma_f32 v21, v29, v18, -v21
	v_mul_f32_e32 v18, v19, v27
	v_fma_f32 v48, v26, v21, -v18
	v_mul_f32_e32 v49, v21, v27
	v_add_u32_e32 v18, v28, v36
	v_fmac_f32_e32 v4, v22, v1
	v_fmac_f32_e32 v49, v26, v19
	v_lshrrev_b32_e32 v19, 7, v18
	v_lshrrev_b32_e32 v22, 2, v18
	v_and_b32_e32 v19, 0xf8, v19
	v_and_b32_e32 v22, 0xf8, v22
	v_add_u32_e32 v19, s0, v19
	v_and_b32_e32 v21, 31, v18
	v_add_u32_e32 v22, s0, v22
	ds_read_b32 v1, v25 offset:15364
	v_lshl_add_u32 v21, v21, 3, 0
	v_add_u32_e32 v33, v18, v36
	ds_read_b64 v[24:25], v19 offset:512
	ds_read_b64 v[18:19], v21 offset:15360
	;; [unrolled: 1-line block ×3, first 2 shown]
	v_lshrrev_b32_e32 v21, 7, v33
	v_and_b32_e32 v21, 0xf8, v21
	v_add_u32_e32 v21, s0, v21
	ds_read_b64 v[34:35], v21 offset:512
	s_waitcnt lgkmcnt(1)
	v_mul_f32_e32 v21, v18, v22
	v_fma_f32 v21, -v19, v23, v21
	v_pk_mul_f32 v[18:19], v[18:19], v[22:23] op_sel:[1,0] op_sel_hi:[0,1]
	v_add_f32_e32 v19, v18, v19
	v_mul_f32_e32 v18, v19, v25
	v_mul_f32_e32 v22, v21, v25
	v_fma_f32 v18, v24, v21, -v18
	v_fmac_f32_e32 v22, v24, v19
	v_and_b32_e32 v19, 31, v33
	v_lshrrev_b32_e32 v21, 2, v33
	v_lshl_add_u32 v19, v19, 3, 0
	v_and_b32_e32 v21, 0xf8, v21
	global_load_dwordx4 v[24:27], v17, s[16:17] offset:272
	global_load_dwordx4 v[28:31], v17, s[16:17] offset:256
	v_add_u32_e32 v21, s0, v21
	v_add_u32_e32 v23, v33, v36
	ds_read_b64 v[36:37], v19 offset:15360
	ds_read_b64 v[38:39], v21 offset:256
	v_lshrrev_b32_e32 v33, 7, v23
	v_and_b32_e32 v33, 0xf8, v33
	v_and_b32_e32 v19, 31, v23
	v_add_u32_e32 v33, s0, v33
	v_lshl_add_u32 v19, v19, 3, 0
	s_waitcnt lgkmcnt(0)
	v_mul_f32_e32 v21, v36, v39
	ds_read_b64 v[40:41], v33 offset:512
	ds_read_b64 v[42:43], v19 offset:15360
	v_mul_f32_e32 v19, v37, v39
	v_fmac_f32_e32 v21, v37, v38
	v_fma_f32 v19, v36, v38, -v19
	v_mul_f32_e32 v33, v21, v35
	v_fma_f32 v50, v34, v19, -v33
	v_mul_f32_e32 v19, v19, v35
	v_fmac_f32_e32 v19, v34, v21
	global_load_dwordx2 v[34:35], v17, s[16:17] offset:288
	v_lshrrev_b32_e32 v21, 2, v23
	v_and_b32_e32 v21, 0xf8, v21
	v_add_u32_e32 v21, s0, v21
	ds_read_b64 v[36:37], v21 offset:256
	v_lshrrev_b32_e32 v23, 7, v44
	v_and_b32_e32 v17, 0xf8, v23
	v_lshrrev_b32_e32 v23, 2, v44
	v_add_u32_e32 v17, s0, v17
	v_and_b32_e32 v21, 0xf8, v23
	v_add_u32_e32 v21, s0, v21
	ds_read_b64 v[38:39], v17 offset:512
	ds_read_b64 v[44:45], v21 offset:256
	s_waitcnt lgkmcnt(2)
	v_mul_f32_e32 v21, v42, v37
	v_mul_f32_e32 v17, v43, v37
	v_fmac_f32_e32 v21, v43, v36
	v_fma_f32 v17, v42, v36, -v17
	v_mul_f32_e32 v23, v21, v41
	v_add_u32_e32 v14, v14, v16
	v_fma_f32 v51, v40, v17, -v23
	v_mul_f32_e32 v52, v17, v41
	v_mad_u64_u32 v[16:17], s[0:1], s12, v15, v[14:15]
	v_fmac_f32_e32 v52, v40, v21
	v_mov_b32_e32 v17, 0
	s_waitcnt lgkmcnt(0)
	v_mul_f32_e32 v21, v32, v45
	v_lshl_add_u64 v[36:37], v[16:17], 3, s[4:5]
	v_mul_f32_e32 v16, v1, v45
	v_fmac_f32_e32 v21, v44, v1
	v_fma_f32 v16, v32, v44, -v16
	v_mul_f32_e32 v1, v39, v21
	v_fma_f32 v53, v38, v16, -v1
	v_add_u32_e32 v1, 40, v15
	v_mul_f32_e32 v54, v39, v16
	v_mad_u64_u32 v[32:33], s[0:1], s12, v1, v[14:15]
	v_add_u32_e32 v1, 0x50, v15
	v_fmac_f32_e32 v54, v38, v21
	v_mad_u64_u32 v[38:39], s[0:1], s12, v1, v[14:15]
	v_add_u32_e32 v1, 0x78, v15
	v_mad_u64_u32 v[40:41], s[0:1], s12, v1, v[14:15]
	v_add_u32_e32 v1, 0xa0, v15
	;; [unrolled: 2-line block ×3, first 2 shown]
	v_mad_u64_u32 v[14:15], s[0:1], s12, v1, v[14:15]
	v_mov_b32_e32 v16, v11
	v_mov_b32_e32 v33, v17
	;; [unrolled: 1-line block ×6, first 2 shown]
	s_mov_b32 s0, 0x3f5db3d7
	s_mov_b32 s2, -0.5
	v_lshl_add_u64 v[32:33], v[32:33], 3, s[4:5]
	v_lshl_add_u64 v[38:39], v[38:39], 3, s[4:5]
	;; [unrolled: 1-line block ×5, first 2 shown]
	s_mov_b32 s4, 0xbf5db3d7
	s_waitcnt vmcnt(1)
	v_pk_mul_f32 v[16:17], v[16:17], v[30:31] op_sel_hi:[0,1]
	v_pk_fma_f32 v[44:45], v[10:11], v[30:31], v[16:17] op_sel:[0,0,1] op_sel_hi:[1,1,0]
	v_pk_fma_f32 v[10:11], v[10:11], v[30:31], v[16:17] op_sel:[0,0,1] op_sel_hi:[0,1,0] neg_lo:[1,0,0] neg_hi:[1,0,0]
	v_mov_b32_e32 v10, v3
	v_mov_b32_e32 v45, v11
	v_pk_mul_f32 v[10:11], v[10:11], v[26:27] op_sel_hi:[0,1]
	v_pk_fma_f32 v[16:17], v[2:3], v[26:27], v[10:11] op_sel:[0,0,1] op_sel_hi:[1,1,0]
	v_pk_fma_f32 v[2:3], v[2:3], v[26:27], v[10:11] op_sel:[0,0,1] op_sel_hi:[0,1,0] neg_lo:[1,0,0] neg_hi:[1,0,0]
	v_mov_b32_e32 v2, v13
	v_mov_b32_e32 v17, v3
	v_pk_mul_f32 v[2:3], v[2:3], v[24:25] op_sel_hi:[0,1]
	v_pk_fma_f32 v[10:11], v[12:13], v[24:25], v[2:3] op_sel:[0,0,1] op_sel_hi:[1,1,0]
	v_pk_fma_f32 v[2:3], v[12:13], v[24:25], v[2:3] op_sel:[0,0,1] op_sel_hi:[0,1,0] neg_lo:[1,0,0] neg_hi:[1,0,0]
	v_pk_add_f32 v[12:13], v[44:45], v[16:17] neg_lo:[0,1] neg_hi:[0,1]
	v_pk_add_f32 v[24:25], v[44:45], v[16:17]
	v_pk_mul_f32 v[12:13], v[12:13], s[0:1] op_sel_hi:[1,0]
	v_pk_fma_f32 v[24:25], -0.5, v[24:25], v[6:7] op_sel_hi:[0,1,1]
	v_mov_b32_e32 v2, v5
	v_pk_add_f32 v[26:27], v[24:25], v[12:13] op_sel:[0,1] op_sel_hi:[1,0]
	v_mov_b32_e32 v11, v3
	s_waitcnt vmcnt(0)
	v_pk_mul_f32 v[2:3], v[2:3], v[34:35] op_sel_hi:[0,1]
	v_pk_add_f32 v[12:13], v[24:25], v[12:13] op_sel:[0,1] op_sel_hi:[1,0] neg_lo:[0,1] neg_hi:[0,1]
	v_mov_b32_e32 v24, v26
	v_pk_fma_f32 v[30:31], v[20:21], v[34:35], v[2:3] op_sel:[0,0,1] op_sel_hi:[1,1,0]
	v_pk_fma_f32 v[2:3], v[20:21], v[34:35], v[2:3] op_sel:[0,0,1] op_sel_hi:[0,1,0] neg_lo:[1,0,0] neg_hi:[1,0,0]
	v_mov_b32_e32 v26, v9
	v_mov_b32_e32 v31, v3
	v_pk_mul_f32 v[34:35], v[26:27], v[28:29] op_sel_hi:[0,1]
	v_pk_add_f32 v[20:21], v[10:11], v[30:31]
	v_pk_fma_f32 v[46:47], v[8:9], v[28:29], v[34:35] op_sel:[0,0,1] op_sel_hi:[0,1,0]
	v_pk_fma_f32 v[8:9], v[8:9], v[28:29], v[34:35] op_sel:[0,0,1] op_sel_hi:[0,1,0] neg_lo:[1,0,0] neg_hi:[1,0,0]
	v_pk_add_f32 v[2:3], v[10:11], v[30:31] neg_lo:[0,1] neg_hi:[0,1]
	v_mov_b32_e32 v47, v9
	v_mov_b32_e32 v1, v46
	v_fmac_f32_e32 v9, -0.5, v21
	v_fmac_f32_e32 v1, -0.5, v20
	v_fmamk_f32 v20, v2, 0xbf5db3d7, v9
	s_mov_b32 s5, s2
	v_fmamk_f32 v8, v3, 0x3f5db3d7, v1
	v_fmac_f32_e32 v1, 0xbf5db3d7, v3
	v_fmac_f32_e32 v9, 0x3f5db3d7, v2
	v_pk_add_f32 v[2:3], v[46:47], v[10:11]
	s_mov_b32 s3, s0
	v_pk_mul_f32 v[10:11], v[20:21], s[4:5] op_sel_hi:[0,1]
	v_mov_b32_e32 v25, v13
	v_mul_f32_e32 v13, 0.5, v9
	v_mul_f32_e32 v26, 0xbf5db3d7, v9
	v_pk_fma_f32 v[8:9], v[8:9], s[2:3], v[10:11] op_sel_hi:[0,1,1]
	v_pk_add_f32 v[10:11], v[24:25], v[8:9] neg_lo:[0,1] neg_hi:[0,1]
	v_fmac_f32_e32 v26, 0.5, v1
	v_pk_mul_f32 v[4:5], v[10:11], v[4:5] op_sel_hi:[1,0]
	v_fmac_f32_e32 v13, 0x3f5db3d7, v1
	v_pk_fma_f32 v[20:21], v[10:11], v[0:1], v[4:5] op_sel:[0,0,1] op_sel_hi:[1,1,0]
	v_pk_fma_f32 v[0:1], v[10:11], v[0:1], v[4:5] op_sel:[0,0,1] op_sel_hi:[1,0,0] neg_lo:[0,0,1] neg_hi:[0,0,1]
	v_sub_f32_e32 v10, v12, v26
	v_sub_f32_e32 v0, v27, v13
	v_mul_f32_e32 v4, v10, v49
	v_pk_add_f32 v[6:7], v[6:7], v[44:45]
	v_pk_add_f32 v[2:3], v[2:3], v[30:31]
	v_fma_f32 v5, v0, v48, -v4
	v_mul_f32_e32 v4, v0, v49
	v_pk_add_f32 v[6:7], v[6:7], v[16:17]
	v_fmac_f32_e32 v4, v10, v48
	v_pk_add_f32 v[10:11], v[6:7], v[2:3] neg_lo:[0,1] neg_hi:[0,1]
	v_pk_add_f32 v[8:9], v[24:25], v[8:9]
	v_pk_mul_f32 v[16:17], v[10:11], v[22:23] op_sel_hi:[1,0]
	v_mul_f32_e32 v0, v8, v19
	v_pk_fma_f32 v[22:23], v[10:11], v[18:19], v[16:17] op_sel:[0,0,1] op_sel_hi:[1,1,0]
	v_pk_fma_f32 v[10:11], v[10:11], v[18:19], v[16:17] op_sel:[0,0,1] op_sel_hi:[1,0,0] neg_lo:[0,0,1] neg_hi:[0,0,1]
	v_mul_f32_e32 v16, v9, v19
	v_add_f32_e32 v10, v12, v26
	v_fma_f32 v17, v9, v50, -v0
	v_fmac_f32_e32 v16, v8, v50
	v_add_f32_e32 v0, v27, v13
	v_mul_f32_e32 v8, v52, v10
	v_pk_add_f32 v[2:3], v[6:7], v[2:3]
	v_fma_f32 v9, v51, v0, -v8
	v_mul_f32_e32 v8, v52, v0
	v_mul_f32_e32 v0, v2, v54
	;; [unrolled: 1-line block ×3, first 2 shown]
	v_fma_f32 v7, v3, v53, -v0
	v_fmac_f32_e32 v6, v2, v53
	v_mov_b32_e32 v23, v11
	v_mov_b32_e32 v21, v1
	v_fmac_f32_e32 v8, v51, v10
	global_store_dwordx2 v[36:37], v[6:7], off
	global_store_dwordx2 v[32:33], v[8:9], off
	;; [unrolled: 1-line block ×6, first 2 shown]
.LBB0_37:
	s_endpgm
	.section	.rodata,"a",@progbits
	.p2align	6, 0x0
	.amdhsa_kernel fft_rtc_back_len240_factors_8_5_6_wgs_384_tpt_48_sp_ip_CI_sbcc_twdbase5_3step_dirReg_intrinsicReadWrite
		.amdhsa_group_segment_fixed_size 0
		.amdhsa_private_segment_fixed_size 0
		.amdhsa_kernarg_size 96
		.amdhsa_user_sgpr_count 2
		.amdhsa_user_sgpr_dispatch_ptr 0
		.amdhsa_user_sgpr_queue_ptr 0
		.amdhsa_user_sgpr_kernarg_segment_ptr 1
		.amdhsa_user_sgpr_dispatch_id 0
		.amdhsa_user_sgpr_kernarg_preload_length 0
		.amdhsa_user_sgpr_kernarg_preload_offset 0
		.amdhsa_user_sgpr_private_segment_size 0
		.amdhsa_uses_dynamic_stack 0
		.amdhsa_enable_private_segment 0
		.amdhsa_system_sgpr_workgroup_id_x 1
		.amdhsa_system_sgpr_workgroup_id_y 0
		.amdhsa_system_sgpr_workgroup_id_z 0
		.amdhsa_system_sgpr_workgroup_info 0
		.amdhsa_system_vgpr_workitem_id 0
		.amdhsa_next_free_vgpr 55
		.amdhsa_next_free_sgpr 39
		.amdhsa_accum_offset 56
		.amdhsa_reserve_vcc 1
		.amdhsa_float_round_mode_32 0
		.amdhsa_float_round_mode_16_64 0
		.amdhsa_float_denorm_mode_32 3
		.amdhsa_float_denorm_mode_16_64 3
		.amdhsa_dx10_clamp 1
		.amdhsa_ieee_mode 1
		.amdhsa_fp16_overflow 0
		.amdhsa_tg_split 0
		.amdhsa_exception_fp_ieee_invalid_op 0
		.amdhsa_exception_fp_denorm_src 0
		.amdhsa_exception_fp_ieee_div_zero 0
		.amdhsa_exception_fp_ieee_overflow 0
		.amdhsa_exception_fp_ieee_underflow 0
		.amdhsa_exception_fp_ieee_inexact 0
		.amdhsa_exception_int_div_zero 0
	.end_amdhsa_kernel
	.text
.Lfunc_end0:
	.size	fft_rtc_back_len240_factors_8_5_6_wgs_384_tpt_48_sp_ip_CI_sbcc_twdbase5_3step_dirReg_intrinsicReadWrite, .Lfunc_end0-fft_rtc_back_len240_factors_8_5_6_wgs_384_tpt_48_sp_ip_CI_sbcc_twdbase5_3step_dirReg_intrinsicReadWrite
                                        ; -- End function
	.section	.AMDGPU.csdata,"",@progbits
; Kernel info:
; codeLenInByte = 4680
; NumSgprs: 45
; NumVgprs: 55
; NumAgprs: 0
; TotalNumVgprs: 55
; ScratchSize: 0
; MemoryBound: 0
; FloatMode: 240
; IeeeMode: 1
; LDSByteSize: 0 bytes/workgroup (compile time only)
; SGPRBlocks: 5
; VGPRBlocks: 6
; NumSGPRsForWavesPerEU: 45
; NumVGPRsForWavesPerEU: 55
; AccumOffset: 56
; Occupancy: 8
; WaveLimiterHint : 1
; COMPUTE_PGM_RSRC2:SCRATCH_EN: 0
; COMPUTE_PGM_RSRC2:USER_SGPR: 2
; COMPUTE_PGM_RSRC2:TRAP_HANDLER: 0
; COMPUTE_PGM_RSRC2:TGID_X_EN: 1
; COMPUTE_PGM_RSRC2:TGID_Y_EN: 0
; COMPUTE_PGM_RSRC2:TGID_Z_EN: 0
; COMPUTE_PGM_RSRC2:TIDIG_COMP_CNT: 0
; COMPUTE_PGM_RSRC3_GFX90A:ACCUM_OFFSET: 13
; COMPUTE_PGM_RSRC3_GFX90A:TG_SPLIT: 0
	.text
	.p2alignl 6, 3212836864
	.fill 256, 4, 3212836864
	.type	__hip_cuid_7594e841ab45e3ad,@object ; @__hip_cuid_7594e841ab45e3ad
	.section	.bss,"aw",@nobits
	.globl	__hip_cuid_7594e841ab45e3ad
__hip_cuid_7594e841ab45e3ad:
	.byte	0                               ; 0x0
	.size	__hip_cuid_7594e841ab45e3ad, 1

	.ident	"AMD clang version 19.0.0git (https://github.com/RadeonOpenCompute/llvm-project roc-6.4.0 25133 c7fe45cf4b819c5991fe208aaa96edf142730f1d)"
	.section	".note.GNU-stack","",@progbits
	.addrsig
	.addrsig_sym __hip_cuid_7594e841ab45e3ad
	.amdgpu_metadata
---
amdhsa.kernels:
  - .agpr_count:     0
    .args:
      - .actual_access:  read_only
        .address_space:  global
        .offset:         0
        .size:           8
        .value_kind:     global_buffer
      - .address_space:  global
        .offset:         8
        .size:           8
        .value_kind:     global_buffer
      - .offset:         16
        .size:           8
        .value_kind:     by_value
      - .actual_access:  read_only
        .address_space:  global
        .offset:         24
        .size:           8
        .value_kind:     global_buffer
      - .actual_access:  read_only
        .address_space:  global
        .offset:         32
        .size:           8
        .value_kind:     global_buffer
      - .offset:         40
        .size:           8
        .value_kind:     by_value
      - .actual_access:  read_only
        .address_space:  global
        .offset:         48
        .size:           8
        .value_kind:     global_buffer
      - .actual_access:  read_only
        .address_space:  global
        .offset:         56
        .size:           8
        .value_kind:     global_buffer
      - .offset:         64
        .size:           4
        .value_kind:     by_value
      - .actual_access:  read_only
        .address_space:  global
        .offset:         72
        .size:           8
        .value_kind:     global_buffer
      - .actual_access:  read_only
        .address_space:  global
        .offset:         80
        .size:           8
        .value_kind:     global_buffer
      - .address_space:  global
        .offset:         88
        .size:           8
        .value_kind:     global_buffer
    .group_segment_fixed_size: 0
    .kernarg_segment_align: 8
    .kernarg_segment_size: 96
    .language:       OpenCL C
    .language_version:
      - 2
      - 0
    .max_flat_workgroup_size: 384
    .name:           fft_rtc_back_len240_factors_8_5_6_wgs_384_tpt_48_sp_ip_CI_sbcc_twdbase5_3step_dirReg_intrinsicReadWrite
    .private_segment_fixed_size: 0
    .sgpr_count:     45
    .sgpr_spill_count: 0
    .symbol:         fft_rtc_back_len240_factors_8_5_6_wgs_384_tpt_48_sp_ip_CI_sbcc_twdbase5_3step_dirReg_intrinsicReadWrite.kd
    .uniform_work_group_size: 1
    .uses_dynamic_stack: false
    .vgpr_count:     55
    .vgpr_spill_count: 0
    .wavefront_size: 64
amdhsa.target:   amdgcn-amd-amdhsa--gfx950
amdhsa.version:
  - 1
  - 2
...

	.end_amdgpu_metadata
